;; amdgpu-corpus repo=ROCm/rocFFT kind=compiled arch=gfx906 opt=O3
	.text
	.amdgcn_target "amdgcn-amd-amdhsa--gfx906"
	.amdhsa_code_object_version 6
	.protected	fft_rtc_fwd_len288_factors_6_6_4_2_wgs_120_tpt_24_halfLds_sp_op_CI_CI_unitstride_sbrr_C2R_dirReg ; -- Begin function fft_rtc_fwd_len288_factors_6_6_4_2_wgs_120_tpt_24_halfLds_sp_op_CI_CI_unitstride_sbrr_C2R_dirReg
	.globl	fft_rtc_fwd_len288_factors_6_6_4_2_wgs_120_tpt_24_halfLds_sp_op_CI_CI_unitstride_sbrr_C2R_dirReg
	.p2align	8
	.type	fft_rtc_fwd_len288_factors_6_6_4_2_wgs_120_tpt_24_halfLds_sp_op_CI_CI_unitstride_sbrr_C2R_dirReg,@function
fft_rtc_fwd_len288_factors_6_6_4_2_wgs_120_tpt_24_halfLds_sp_op_CI_CI_unitstride_sbrr_C2R_dirReg: ; @fft_rtc_fwd_len288_factors_6_6_4_2_wgs_120_tpt_24_halfLds_sp_op_CI_CI_unitstride_sbrr_C2R_dirReg
; %bb.0:
	v_mul_u32_u24_e32 v1, 0xaab, v0
	s_load_dwordx4 s[8:11], s[4:5], 0x58
	s_load_dwordx4 s[12:15], s[4:5], 0x0
	;; [unrolled: 1-line block ×3, first 2 shown]
	v_lshrrev_b32_e32 v1, 16, v1
	v_mad_u64_u32 v[8:9], s[0:1], s6, 5, v[1:2]
	v_mov_b32_e32 v10, 0
	s_waitcnt lgkmcnt(0)
	v_cmp_lt_u64_e64 s[0:1], s[14:15], 2
	v_mov_b32_e32 v6, 0
	v_mov_b32_e32 v9, v10
	;; [unrolled: 1-line block ×5, first 2 shown]
	s_and_b64 vcc, exec, s[0:1]
	v_mov_b32_e32 v2, v7
	v_mov_b32_e32 v4, v9
	s_cbranch_vccnz .LBB0_8
; %bb.1:
	s_load_dwordx2 s[0:1], s[4:5], 0x10
	s_add_u32 s2, s18, 8
	s_addc_u32 s3, s19, 0
	s_add_u32 s6, s16, 8
	s_addc_u32 s7, s17, 0
	v_mov_b32_e32 v6, 0
	s_waitcnt lgkmcnt(0)
	s_add_u32 s20, s0, 8
	v_mov_b32_e32 v7, 0
	v_mov_b32_e32 v1, v6
	;; [unrolled: 1-line block ×3, first 2 shown]
	s_addc_u32 s21, s1, 0
	s_mov_b64 s[22:23], 1
	v_mov_b32_e32 v2, v7
	v_mov_b32_e32 v12, v8
.LBB0_2:                                ; =>This Inner Loop Header: Depth=1
	s_load_dwordx2 s[24:25], s[20:21], 0x0
                                        ; implicit-def: $vgpr3_vgpr4
	s_waitcnt lgkmcnt(0)
	v_or_b32_e32 v11, s25, v13
	v_cmp_ne_u64_e32 vcc, 0, v[10:11]
	s_and_saveexec_b64 s[0:1], vcc
	s_xor_b64 s[26:27], exec, s[0:1]
	s_cbranch_execz .LBB0_4
; %bb.3:                                ;   in Loop: Header=BB0_2 Depth=1
	v_cvt_f32_u32_e32 v3, s24
	v_cvt_f32_u32_e32 v4, s25
	s_sub_u32 s0, 0, s24
	s_subb_u32 s1, 0, s25
	v_mac_f32_e32 v3, 0x4f800000, v4
	v_rcp_f32_e32 v3, v3
	v_mul_f32_e32 v3, 0x5f7ffffc, v3
	v_mul_f32_e32 v4, 0x2f800000, v3
	v_trunc_f32_e32 v4, v4
	v_mac_f32_e32 v3, 0xcf800000, v4
	v_cvt_u32_f32_e32 v4, v4
	v_cvt_u32_f32_e32 v3, v3
	v_mul_lo_u32 v5, s0, v4
	v_mul_hi_u32 v9, s0, v3
	v_mul_lo_u32 v14, s1, v3
	v_mul_lo_u32 v11, s0, v3
	v_add_u32_e32 v5, v9, v5
	v_add_u32_e32 v5, v5, v14
	v_mul_hi_u32 v9, v3, v11
	v_mul_lo_u32 v14, v3, v5
	v_mul_hi_u32 v16, v3, v5
	v_mul_hi_u32 v15, v4, v11
	v_mul_lo_u32 v11, v4, v11
	v_mul_hi_u32 v17, v4, v5
	v_add_co_u32_e32 v9, vcc, v9, v14
	v_addc_co_u32_e32 v14, vcc, 0, v16, vcc
	v_mul_lo_u32 v5, v4, v5
	v_add_co_u32_e32 v9, vcc, v9, v11
	v_addc_co_u32_e32 v9, vcc, v14, v15, vcc
	v_addc_co_u32_e32 v11, vcc, 0, v17, vcc
	v_add_co_u32_e32 v5, vcc, v9, v5
	v_addc_co_u32_e32 v9, vcc, 0, v11, vcc
	v_add_co_u32_e32 v3, vcc, v3, v5
	v_addc_co_u32_e32 v4, vcc, v4, v9, vcc
	v_mul_lo_u32 v5, s0, v4
	v_mul_hi_u32 v9, s0, v3
	v_mul_lo_u32 v11, s1, v3
	v_mul_lo_u32 v14, s0, v3
	v_add_u32_e32 v5, v9, v5
	v_add_u32_e32 v5, v5, v11
	v_mul_lo_u32 v15, v3, v5
	v_mul_hi_u32 v16, v3, v14
	v_mul_hi_u32 v17, v3, v5
	;; [unrolled: 1-line block ×3, first 2 shown]
	v_mul_lo_u32 v14, v4, v14
	v_mul_hi_u32 v9, v4, v5
	v_add_co_u32_e32 v15, vcc, v16, v15
	v_addc_co_u32_e32 v16, vcc, 0, v17, vcc
	v_mul_lo_u32 v5, v4, v5
	v_add_co_u32_e32 v14, vcc, v15, v14
	v_addc_co_u32_e32 v11, vcc, v16, v11, vcc
	v_addc_co_u32_e32 v9, vcc, 0, v9, vcc
	v_add_co_u32_e32 v5, vcc, v11, v5
	v_addc_co_u32_e32 v9, vcc, 0, v9, vcc
	v_add_co_u32_e32 v5, vcc, v3, v5
	v_addc_co_u32_e32 v9, vcc, v4, v9, vcc
	v_mad_u64_u32 v[3:4], s[0:1], v12, v9, 0
	v_mul_hi_u32 v11, v12, v5
	v_mad_u64_u32 v[14:15], s[0:1], v13, v9, 0
	v_add_co_u32_e32 v11, vcc, v11, v3
	v_addc_co_u32_e32 v16, vcc, 0, v4, vcc
	v_mad_u64_u32 v[3:4], s[0:1], v13, v5, 0
	v_add_co_u32_e32 v3, vcc, v11, v3
	v_addc_co_u32_e32 v3, vcc, v16, v4, vcc
	v_addc_co_u32_e32 v4, vcc, 0, v15, vcc
	v_add_co_u32_e32 v5, vcc, v3, v14
	v_addc_co_u32_e32 v9, vcc, 0, v4, vcc
	v_mul_lo_u32 v11, s25, v5
	v_mul_lo_u32 v14, s24, v9
	v_mad_u64_u32 v[3:4], s[0:1], s24, v5, 0
	v_add3_u32 v4, v4, v14, v11
	v_sub_u32_e32 v11, v13, v4
	v_mov_b32_e32 v14, s25
	v_sub_co_u32_e32 v3, vcc, v12, v3
	v_subb_co_u32_e64 v11, s[0:1], v11, v14, vcc
	v_subrev_co_u32_e64 v14, s[0:1], s24, v3
	v_subbrev_co_u32_e64 v11, s[0:1], 0, v11, s[0:1]
	v_cmp_le_u32_e64 s[0:1], s25, v11
	v_cndmask_b32_e64 v15, 0, -1, s[0:1]
	v_cmp_le_u32_e64 s[0:1], s24, v14
	v_cndmask_b32_e64 v14, 0, -1, s[0:1]
	v_cmp_eq_u32_e64 s[0:1], s25, v11
	v_cndmask_b32_e64 v11, v15, v14, s[0:1]
	v_add_co_u32_e64 v14, s[0:1], 2, v5
	v_addc_co_u32_e64 v15, s[0:1], 0, v9, s[0:1]
	v_add_co_u32_e64 v16, s[0:1], 1, v5
	v_addc_co_u32_e64 v17, s[0:1], 0, v9, s[0:1]
	v_subb_co_u32_e32 v4, vcc, v13, v4, vcc
	v_cmp_ne_u32_e64 s[0:1], 0, v11
	v_cmp_le_u32_e32 vcc, s25, v4
	v_cndmask_b32_e64 v11, v17, v15, s[0:1]
	v_cndmask_b32_e64 v15, 0, -1, vcc
	v_cmp_le_u32_e32 vcc, s24, v3
	v_cndmask_b32_e64 v3, 0, -1, vcc
	v_cmp_eq_u32_e32 vcc, s25, v4
	v_cndmask_b32_e32 v3, v15, v3, vcc
	v_cmp_ne_u32_e32 vcc, 0, v3
	v_cndmask_b32_e64 v3, v16, v14, s[0:1]
	v_cndmask_b32_e32 v4, v9, v11, vcc
	v_cndmask_b32_e32 v3, v5, v3, vcc
.LBB0_4:                                ;   in Loop: Header=BB0_2 Depth=1
	s_andn2_saveexec_b64 s[0:1], s[26:27]
	s_cbranch_execz .LBB0_6
; %bb.5:                                ;   in Loop: Header=BB0_2 Depth=1
	v_cvt_f32_u32_e32 v3, s24
	s_sub_i32 s26, 0, s24
	v_rcp_iflag_f32_e32 v3, v3
	v_mul_f32_e32 v3, 0x4f7ffffe, v3
	v_cvt_u32_f32_e32 v3, v3
	v_mul_lo_u32 v4, s26, v3
	v_mul_hi_u32 v4, v3, v4
	v_add_u32_e32 v3, v3, v4
	v_mul_hi_u32 v3, v12, v3
	v_mul_lo_u32 v4, v3, s24
	v_add_u32_e32 v5, 1, v3
	v_sub_u32_e32 v4, v12, v4
	v_subrev_u32_e32 v9, s24, v4
	v_cmp_le_u32_e32 vcc, s24, v4
	v_cndmask_b32_e32 v4, v4, v9, vcc
	v_cndmask_b32_e32 v3, v3, v5, vcc
	v_add_u32_e32 v5, 1, v3
	v_cmp_le_u32_e32 vcc, s24, v4
	v_cndmask_b32_e32 v3, v3, v5, vcc
	v_mov_b32_e32 v4, v10
.LBB0_6:                                ;   in Loop: Header=BB0_2 Depth=1
	s_or_b64 exec, exec, s[0:1]
	v_mul_lo_u32 v5, v4, s24
	v_mul_lo_u32 v9, v3, s25
	v_mad_u64_u32 v[14:15], s[0:1], v3, s24, 0
	s_load_dwordx2 s[0:1], s[6:7], 0x0
	s_load_dwordx2 s[24:25], s[2:3], 0x0
	v_add3_u32 v5, v15, v9, v5
	v_sub_co_u32_e32 v9, vcc, v12, v14
	v_subb_co_u32_e32 v5, vcc, v13, v5, vcc
	s_waitcnt lgkmcnt(0)
	v_mul_lo_u32 v11, s0, v5
	v_mul_lo_u32 v12, s1, v9
	v_mad_u64_u32 v[6:7], s[0:1], s0, v9, v[6:7]
	s_add_u32 s22, s22, 1
	s_addc_u32 s23, s23, 0
	s_add_u32 s2, s2, 8
	v_mul_lo_u32 v5, s24, v5
	v_mul_lo_u32 v13, s25, v9
	v_mad_u64_u32 v[1:2], s[0:1], s24, v9, v[1:2]
	v_add3_u32 v7, v12, v7, v11
	s_addc_u32 s3, s3, 0
	v_mov_b32_e32 v11, s14
	s_add_u32 s6, s6, 8
	v_mov_b32_e32 v12, s15
	s_addc_u32 s7, s7, 0
	v_cmp_ge_u64_e32 vcc, s[22:23], v[11:12]
	s_add_u32 s20, s20, 8
	v_add3_u32 v2, v13, v2, v5
	s_addc_u32 s21, s21, 0
	s_cbranch_vccnz .LBB0_8
; %bb.7:                                ;   in Loop: Header=BB0_2 Depth=1
	v_mov_b32_e32 v13, v4
	v_mov_b32_e32 v12, v3
	s_branch .LBB0_2
.LBB0_8:
	s_mov_b32 s2, 0xcccccccd
	s_load_dwordx2 s[0:1], s[4:5], 0x28
	v_mul_hi_u32 v5, v8, s2
	s_lshl_b64 s[6:7], s[14:15], 3
	s_add_u32 s2, s18, s6
	s_addc_u32 s3, s19, s7
	v_lshrrev_b32_e32 v5, 2, v5
	v_lshl_add_u32 v5, v5, 2, v5
	s_waitcnt lgkmcnt(0)
	v_cmp_gt_u64_e32 vcc, s[0:1], v[3:4]
	v_cmp_le_u64_e64 s[0:1], s[0:1], v[3:4]
	v_sub_u32_e32 v10, v8, v5
                                        ; implicit-def: $vgpr5
                                        ; implicit-def: $vgpr8_vgpr9
	s_and_saveexec_b64 s[4:5], s[0:1]
	s_xor_b64 s[0:1], exec, s[4:5]
; %bb.9:
	s_mov_b32 s4, 0xaaaaaab
	v_mul_hi_u32 v5, v0, s4
	v_mov_b32_e32 v6, 0
	v_mul_u32_u24_e32 v5, 24, v5
	v_sub_u32_e32 v5, v0, v5
	v_mov_b32_e32 v9, v6
	v_mov_b32_e32 v8, v5
                                        ; implicit-def: $vgpr0
                                        ; implicit-def: $vgpr6_vgpr7
; %bb.10:
	s_or_saveexec_b64 s[4:5], s[0:1]
	s_load_dwordx2 s[2:3], s[2:3], 0x0
	v_mul_u32_u24_e32 v12, 0x121, v10
	v_lshlrev_b32_e32 v14, 3, v12
	s_xor_b64 exec, exec, s[4:5]
	s_cbranch_execz .LBB0_14
; %bb.11:
	s_add_u32 s0, s16, s6
	s_addc_u32 s1, s17, s7
	s_load_dwordx2 s[0:1], s[0:1], 0x0
	s_mov_b32 s6, 0xaaaaaab
	v_mul_hi_u32 v5, v0, s6
	v_lshlrev_b64 v[6:7], 3, v[6:7]
	s_waitcnt lgkmcnt(0)
	v_mul_lo_u32 v10, s1, v3
	v_mul_lo_u32 v11, s0, v4
	v_mad_u64_u32 v[8:9], s[0:1], s0, v3, 0
	v_mul_u32_u24_e32 v5, 24, v5
	v_sub_u32_e32 v5, v0, v5
	v_add3_u32 v9, v9, v11, v10
	v_lshlrev_b64 v[8:9], 3, v[8:9]
	v_mov_b32_e32 v0, s9
	v_add_co_u32_e64 v8, s[0:1], s8, v8
	v_addc_co_u32_e64 v0, s[0:1], v0, v9, s[0:1]
	v_add_co_u32_e64 v10, s[0:1], v8, v6
	v_addc_co_u32_e64 v11, s[0:1], v0, v7, s[0:1]
	v_lshlrev_b32_e32 v0, 3, v5
	v_add_co_u32_e64 v6, s[0:1], v10, v0
	v_addc_co_u32_e64 v7, s[0:1], 0, v11, s[0:1]
	global_load_dwordx2 v[8:9], v[6:7], off
	global_load_dwordx2 v[15:16], v[6:7], off offset:192
	global_load_dwordx2 v[17:18], v[6:7], off offset:384
	;; [unrolled: 1-line block ×11, first 2 shown]
	v_mov_b32_e32 v6, 0
	v_add3_u32 v0, 0, v14, v0
	v_add_u32_e32 v7, 0x400, v0
	v_cmp_eq_u32_e64 s[0:1], 23, v5
	s_waitcnt vmcnt(10)
	ds_write2_b64 v0, v[8:9], v[15:16] offset1:24
	s_waitcnt vmcnt(8)
	ds_write2_b64 v0, v[17:18], v[19:20] offset0:48 offset1:72
	s_waitcnt vmcnt(6)
	ds_write2_b64 v0, v[21:22], v[23:24] offset0:96 offset1:120
	;; [unrolled: 2-line block ×5, first 2 shown]
	v_mov_b32_e32 v9, v6
	v_mov_b32_e32 v8, v5
	s_and_saveexec_b64 s[6:7], s[0:1]
	s_cbranch_execz .LBB0_13
; %bb.12:
	global_load_dwordx2 v[5:6], v[10:11], off offset:2304
	v_mov_b32_e32 v8, 23
	v_mov_b32_e32 v9, 0
	s_waitcnt vmcnt(0)
	ds_write_b64 v0, v[5:6] offset:2120
	v_mov_b32_e32 v5, 23
.LBB0_13:
	s_or_b64 exec, exec, s[6:7]
.LBB0_14:
	s_or_b64 exec, exec, s[4:5]
	v_lshl_add_u32 v0, v12, 3, 0
	v_lshlrev_b32_e32 v16, 3, v5
	v_add_u32_e32 v13, v0, v16
	s_waitcnt lgkmcnt(0)
	s_barrier
	v_sub_u32_e32 v15, v0, v16
	ds_read_b32 v6, v13
	ds_read_b32 v10, v15 offset:2304
	v_lshlrev_b64 v[7:8], 3, v[8:9]
	v_cmp_ne_u32_e64 s[0:1], 0, v5
	s_waitcnt lgkmcnt(0)
	v_add_f32_e32 v11, v10, v6
	v_sub_f32_e32 v12, v6, v10
	s_and_saveexec_b64 s[4:5], s[0:1]
	s_xor_b64 s[4:5], exec, s[4:5]
	s_cbranch_execz .LBB0_16
; %bb.15:
	v_mov_b32_e32 v9, s13
	v_add_co_u32_e64 v11, s[0:1], s12, v7
	v_addc_co_u32_e64 v12, s[0:1], v9, v8, s[0:1]
	global_load_dwordx2 v[17:18], v[11:12], off offset:2256
	ds_read_b32 v9, v15 offset:2308
	ds_read_b32 v11, v13 offset:4
	v_add_f32_e32 v19, v10, v6
	v_sub_f32_e32 v6, v6, v10
	s_waitcnt lgkmcnt(0)
	v_add_f32_e32 v20, v9, v11
	v_sub_f32_e32 v10, v11, v9
	s_waitcnt vmcnt(0)
	v_fma_f32 v12, v20, v18, v10
	v_fma_f32 v9, -v6, v18, v19
	v_fma_f32 v10, v20, v18, -v10
	v_fma_f32 v11, v6, v18, v19
	v_fmac_f32_e32 v9, v17, v20
	v_fmac_f32_e32 v10, v6, v17
	v_fma_f32 v11, -v17, v20, v11
	v_fmac_f32_e32 v12, v6, v17
	ds_write_b64 v15, v[9:10] offset:2304
.LBB0_16:
	s_andn2_saveexec_b64 s[0:1], s[4:5]
	s_cbranch_execz .LBB0_18
; %bb.17:
	ds_read_b64 v[9:10], v0 offset:1152
	s_waitcnt lgkmcnt(0)
	v_add_f32_e32 v9, v9, v9
	v_mul_f32_e32 v10, -2.0, v10
	ds_write_b64 v0, v[9:10] offset:1152
.LBB0_18:
	s_or_b64 exec, exec, s[0:1]
	v_mov_b32_e32 v6, 0
	s_add_u32 s0, s12, 0x8d0
	v_lshlrev_b64 v[9:10], 3, v[5:6]
	s_addc_u32 s1, s13, 0
	v_mov_b32_e32 v18, s1
	v_add_co_u32_e64 v17, s[0:1], s0, v9
	v_addc_co_u32_e64 v18, s[0:1], v18, v10, s[0:1]
	global_load_dwordx2 v[19:20], v[17:18], off offset:192
	global_load_dwordx2 v[21:22], v[17:18], off offset:384
	;; [unrolled: 1-line block ×4, first 2 shown]
	ds_write_b64 v13, v[11:12]
	ds_read_b64 v[11:12], v13 offset:192
	ds_read_b64 v[27:28], v15 offset:2112
	global_load_dwordx2 v[17:18], v[17:18], off offset:960
	s_movk_i32 s0, 0xab
	s_waitcnt lgkmcnt(0)
	v_add_f32_e32 v29, v11, v27
	v_add_f32_e32 v30, v28, v12
	v_sub_f32_e32 v31, v11, v27
	v_sub_f32_e32 v11, v12, v28
	s_waitcnt vmcnt(4)
	v_fma_f32 v32, v31, v20, v29
	v_fma_f32 v12, v30, v20, v11
	v_fma_f32 v27, -v31, v20, v29
	v_fma_f32 v28, v30, v20, -v11
	v_fma_f32 v11, -v19, v30, v32
	v_fmac_f32_e32 v12, v31, v19
	v_fmac_f32_e32 v27, v19, v30
	v_fmac_f32_e32 v28, v31, v19
	ds_write_b64 v13, v[11:12] offset:192
	ds_write_b64 v15, v[27:28] offset:2112
	ds_read_b64 v[11:12], v13 offset:384
	ds_read_b64 v[19:20], v15 offset:1920
	s_waitcnt lgkmcnt(0)
	v_add_f32_e32 v27, v11, v19
	v_add_f32_e32 v28, v20, v12
	v_sub_f32_e32 v29, v11, v19
	v_sub_f32_e32 v11, v12, v20
	s_waitcnt vmcnt(3)
	v_fma_f32 v30, v29, v22, v27
	v_fma_f32 v12, v28, v22, v11
	v_fma_f32 v19, -v29, v22, v27
	v_fma_f32 v20, v28, v22, -v11
	v_fma_f32 v11, -v21, v28, v30
	v_fmac_f32_e32 v12, v29, v21
	v_fmac_f32_e32 v19, v21, v28
	v_fmac_f32_e32 v20, v29, v21
	ds_write_b64 v13, v[11:12] offset:384
	ds_write_b64 v15, v[19:20] offset:1920
	ds_read_b64 v[11:12], v13 offset:576
	ds_read_b64 v[19:20], v15 offset:1728
	;; [unrolled: 18-line block ×4, first 2 shown]
	v_add3_u32 v11, 0, v16, v14
	v_mad_u32_u24 v48, v5, 40, v11
	s_waitcnt lgkmcnt(0)
	v_add_f32_e32 v12, v19, v21
	v_add_f32_e32 v16, v22, v20
	v_sub_f32_e32 v23, v19, v21
	v_sub_f32_e32 v21, v20, v22
	s_waitcnt vmcnt(0)
	v_fma_f32 v22, v23, v18, v12
	v_fma_f32 v19, v16, v18, v21
	v_fma_f32 v20, -v23, v18, v12
	v_fma_f32 v21, v16, v18, -v21
	v_fma_f32 v18, -v17, v16, v22
	v_fmac_f32_e32 v19, v23, v17
	v_fmac_f32_e32 v20, v17, v16
	;; [unrolled: 1-line block ×3, first 2 shown]
	ds_write_b64 v13, v[18:19] offset:960
	ds_write_b64 v15, v[20:21] offset:1344
	s_waitcnt lgkmcnt(0)
	s_barrier
	s_barrier
	ds_read2_b64 v[15:18], v11 offset0:24 offset1:48
	ds_read2_b64 v[19:22], v11 offset0:120 offset1:144
	;; [unrolled: 1-line block ×5, first 2 shown]
	ds_read_b64 v[35:36], v13
	ds_read_b64 v[37:38], v11 offset:2112
	s_waitcnt lgkmcnt(4)
	v_sub_f32_e32 v40, v22, v26
	v_add_f32_e32 v41, v18, v22
	v_add_f32_e32 v22, v22, v26
	;; [unrolled: 1-line block ×5, first 2 shown]
	v_fma_f32 v22, -0.5, v22, v18
	v_sub_f32_e32 v21, v21, v25
	v_add_f32_e32 v43, v19, v23
	v_sub_f32_e32 v47, v19, v23
	v_add_f32_e32 v12, v12, v25
	v_add_f32_e32 v25, v41, v26
	;; [unrolled: 1-line block ×3, first 2 shown]
	v_fma_f32 v23, -0.5, v39, v17
	v_mov_b32_e32 v18, v22
	v_add_f32_e32 v45, v16, v20
	v_mov_b32_e32 v17, v23
	v_fmac_f32_e32 v18, 0xbf5db3d7, v21
	v_sub_f32_e32 v44, v20, v24
	v_add_f32_e32 v46, v20, v24
	v_add_f32_e32 v41, v45, v24
	v_fmac_f32_e32 v17, 0x3f5db3d7, v40
	v_mul_f32_e32 v24, 0x3f5db3d7, v18
	v_fmac_f32_e32 v24, 0.5, v17
	v_mul_f32_e32 v39, 0xbf5db3d7, v17
	s_waitcnt lgkmcnt(1)
	v_add_f32_e32 v17, v35, v29
	v_add_f32_e32 v20, v30, v34
	v_add_f32_e32 v42, v17, v33
	v_add_f32_e32 v17, v29, v33
	v_add_f32_e32 v19, v36, v30
	v_fmac_f32_e32 v36, -0.5, v20
	v_fma_f32 v35, -0.5, v17, v35
	v_sub_f32_e32 v30, v30, v34
	v_mov_b32_e32 v45, v35
	v_sub_f32_e32 v29, v29, v33
	v_mov_b32_e32 v33, v36
	v_fmac_f32_e32 v39, 0.5, v18
	v_fmac_f32_e32 v45, 0x3f5db3d7, v30
	v_add_f32_e32 v34, v19, v34
	v_fmac_f32_e32 v33, 0xbf5db3d7, v29
	v_add_f32_e32 v17, v42, v12
	v_add_f32_e32 v18, v34, v25
	;; [unrolled: 1-line block ×4, first 2 shown]
	v_fmac_f32_e32 v23, 0xbf5db3d7, v40
	v_fmac_f32_e32 v22, 0x3f5db3d7, v21
	s_waitcnt lgkmcnt(0)
	s_barrier
	ds_write2_b64 v48, v[17:18], v[19:20] offset1:1
	v_sub_f32_e32 v17, v42, v12
	v_mul_f32_e32 v12, -0.5, v23
	v_mul_f32_e32 v21, -0.5, v22
	v_fmac_f32_e32 v35, 0xbf5db3d7, v30
	v_fmac_f32_e32 v36, 0x3f5db3d7, v29
	;; [unrolled: 1-line block ×4, first 2 shown]
	v_sub_f32_e32 v18, v34, v25
	v_add_f32_e32 v19, v35, v12
	v_add_f32_e32 v20, v36, v21
	ds_write2_b64 v48, v[19:20], v[17:18] offset0:2 offset1:3
	v_add_f32_e32 v18, v27, v31
	v_add_f32_e32 v17, v31, v37
	;; [unrolled: 1-line block ×3, first 2 shown]
	v_fma_f32 v17, -0.5, v17, v27
	v_sub_f32_e32 v20, v35, v12
	v_add_f32_e32 v12, v18, v37
	v_sub_f32_e32 v25, v32, v38
	v_add_f32_e32 v29, v28, v32
	v_sub_f32_e32 v30, v31, v37
	v_fmac_f32_e32 v28, -0.5, v19
	v_mov_b32_e32 v27, v17
	v_sub_f32_e32 v22, v45, v24
	v_add_f32_e32 v24, v26, v12
	v_sub_f32_e32 v26, v26, v12
	v_mul_lo_u16_sdwa v12, v5, s0 dst_sel:DWORD dst_unused:UNUSED_PAD src0_sel:BYTE_0 src1_sel:DWORD
	v_fmac_f32_e32 v17, 0xbf5db3d7, v25
	v_mov_b32_e32 v31, v28
	v_fmac_f32_e32 v28, 0x3f5db3d7, v30
	v_fmac_f32_e32 v16, -0.5, v46
	v_fma_f32 v15, -0.5, v43, v15
	v_fmac_f32_e32 v27, 0x3f5db3d7, v25
	v_lshrrev_b16_e32 v43, 10, v12
	v_mul_f32_e32 v32, -0.5, v17
	v_mul_f32_e32 v19, -0.5, v28
	v_mov_b32_e32 v34, v16
	v_sub_f32_e32 v23, v33, v39
	v_mov_b32_e32 v33, v15
	v_fmac_f32_e32 v31, 0xbf5db3d7, v30
	v_mul_f32_e32 v35, 0xbf5db3d7, v27
	v_mul_lo_u16_e32 v12, 6, v43
	v_fmac_f32_e32 v32, 0x3f5db3d7, v28
	v_fmac_f32_e32 v19, 0xbf5db3d7, v17
	;; [unrolled: 1-line block ×6, first 2 shown]
	v_mul_f32_e32 v30, 0x3f5db3d7, v31
	v_fmac_f32_e32 v35, 0.5, v31
	v_sub_u16_e32 v44, v5, v12
	v_mov_b32_e32 v12, 5
	v_add_f32_e32 v17, v16, v19
	v_sub_f32_e32 v19, v16, v19
	v_sub_f32_e32 v21, v36, v21
	v_add_f32_e32 v28, v29, v38
	v_fmac_f32_e32 v30, 0.5, v27
	v_add_f32_e32 v16, v15, v32
	v_sub_f32_e32 v18, v15, v32
	v_sub_f32_e32 v31, v34, v35
	v_mul_u32_u24_sdwa v15, v44, v12 dst_sel:DWORD dst_unused:UNUSED_PAD src0_sel:BYTE_0 src1_sel:DWORD
	v_add_f32_e32 v25, v41, v28
	v_sub_f32_e32 v27, v41, v28
	v_add_f32_e32 v28, v33, v30
	v_add_f32_e32 v29, v34, v35
	v_sub_f32_e32 v30, v33, v30
	ds_write2_b64 v48, v[22:23], v[20:21] offset0:4 offset1:5
	ds_write2_b64 v48, v[24:25], v[28:29] offset0:144 offset1:145
	;; [unrolled: 1-line block ×4, first 2 shown]
	v_lshlrev_b32_e32 v31, 3, v15
	v_add_u32_e32 v45, 24, v5
	s_waitcnt lgkmcnt(0)
	s_barrier
	global_load_dwordx4 v[15:18], v31, s[12:13] offset:16
	v_mul_lo_u16_sdwa v19, v45, s0 dst_sel:DWORD dst_unused:UNUSED_PAD src0_sel:BYTE_0 src1_sel:DWORD
	v_lshrrev_b16_e32 v46, 10, v19
	v_mul_lo_u16_e32 v19, 6, v46
	v_sub_u16_e32 v47, v45, v19
	v_mul_u32_u24_sdwa v12, v47, v12 dst_sel:DWORD dst_unused:UNUSED_PAD src0_sel:BYTE_0 src1_sel:DWORD
	v_lshlrev_b32_e32 v12, 3, v12
	global_load_dwordx4 v[19:22], v12, s[12:13] offset:16
	global_load_dwordx2 v[39:40], v31, s[12:13] offset:32
	global_load_dwordx2 v[41:42], v12, s[12:13] offset:32
	global_load_dwordx4 v[23:26], v12, s[12:13]
	global_load_dwordx4 v[27:30], v31, s[12:13]
	ds_read2_b64 v[31:34], v11 offset0:144 offset1:168
	ds_read2_b64 v[35:38], v11 offset0:192 offset1:216
	s_movk_i32 s0, 0xffd8
	s_waitcnt vmcnt(5) lgkmcnt(1)
	v_mul_f32_e32 v12, v16, v32
	v_fma_f32 v49, v15, v31, -v12
	s_waitcnt lgkmcnt(0)
	v_mul_f32_e32 v12, v18, v36
	v_mul_f32_e32 v50, v16, v31
	v_fma_f32 v51, v17, v35, -v12
	v_mul_f32_e32 v35, v18, v35
	s_waitcnt vmcnt(4)
	v_mul_f32_e32 v12, v34, v20
	v_fmac_f32_e32 v50, v15, v32
	v_fmac_f32_e32 v35, v17, v36
	v_fma_f32 v36, v33, v19, -v12
	v_mul_f32_e32 v33, v33, v20
	v_add_u32_e32 v15, 0x400, v11
	v_fmac_f32_e32 v33, v34, v19
	ds_read2_b64 v[16:19], v15 offset0:112 offset1:136
	v_mul_f32_e32 v12, v38, v22
	v_fma_f32 v34, v37, v21, -v12
	v_mul_f32_e32 v37, v37, v22
	v_fmac_f32_e32 v37, v38, v21
	s_waitcnt vmcnt(3) lgkmcnt(0)
	v_mul_f32_e32 v12, v17, v40
	v_fma_f32 v38, v16, v39, -v12
	v_mul_f32_e32 v40, v16, v40
	s_waitcnt vmcnt(2)
	v_mul_f32_e32 v12, v19, v42
	v_fmac_f32_e32 v40, v17, v39
	v_fma_f32 v39, v18, v41, -v12
	v_mad_i32_i24 v12, v5, s0, v48
	ds_read_b64 v[20:21], v12 offset:960
	v_mul_f32_e32 v42, v18, v42
	v_fmac_f32_e32 v42, v19, v41
	ds_read2_b64 v[16:19], v12 offset0:72 offset1:96
	ds_read_b64 v[31:32], v13
	v_sub_f32_e32 v48, v50, v40
	s_waitcnt vmcnt(1) lgkmcnt(2)
	v_mul_f32_e32 v22, v21, v26
	v_fma_f32 v41, v20, v25, -v22
	v_mul_f32_e32 v26, v20, v26
	s_waitcnt lgkmcnt(1)
	v_mul_f32_e32 v20, v17, v24
	v_mul_f32_e32 v24, v16, v24
	v_fmac_f32_e32 v26, v21, v25
	v_fma_f32 v25, v16, v23, -v20
	v_fmac_f32_e32 v24, v17, v23
	ds_read2_b64 v[20:23], v12 offset0:24 offset1:48
	s_waitcnt vmcnt(0)
	v_mul_f32_e32 v16, v30, v19
	v_fma_f32 v16, v29, v18, -v16
	v_mul_f32_e32 v17, v30, v18
	v_fmac_f32_e32 v17, v29, v19
	s_waitcnt lgkmcnt(0)
	v_mul_f32_e32 v18, v28, v23
	v_fma_f32 v29, v27, v22, -v18
	v_mul_f32_e32 v22, v28, v22
	v_fmac_f32_e32 v22, v27, v23
	v_add_f32_e32 v18, v32, v17
	v_sub_f32_e32 v27, v17, v35
	v_add_f32_e32 v17, v17, v35
	v_add_f32_e32 v23, v18, v35
	v_fmac_f32_e32 v32, -0.5, v17
	v_add_f32_e32 v17, v31, v16
	v_add_f32_e32 v18, v49, v38
	;; [unrolled: 1-line block ×4, first 2 shown]
	v_sub_f32_e32 v30, v16, v51
	v_add_f32_e32 v16, v29, v49
	v_fmac_f32_e32 v29, -0.5, v18
	v_add_f32_e32 v18, v22, v50
	v_add_f32_e32 v35, v18, v40
	;; [unrolled: 1-line block ×3, first 2 shown]
	v_fmac_f32_e32 v22, -0.5, v18
	v_add_f32_e32 v40, v16, v38
	v_sub_f32_e32 v38, v49, v38
	v_mov_b32_e32 v18, v22
	v_mov_b32_e32 v16, v29
	v_fmac_f32_e32 v18, 0xbf5db3d7, v38
	v_fmac_f32_e32 v16, 0x3f5db3d7, v48
	v_mul_f32_e32 v49, 0x3f5db3d7, v18
	s_movk_i32 s0, 0x120
	v_fma_f32 v31, -0.5, v17, v31
	v_fmac_f32_e32 v49, 0.5, v16
	v_mul_f32_e32 v50, 0xbf5db3d7, v16
	v_mad_u32_u24 v16, v43, s0, 0
	v_mov_b32_e32 v43, 3
	v_mov_b32_e32 v51, v31
	;; [unrolled: 1-line block ×3, first 2 shown]
	v_fmac_f32_e32 v50, 0.5, v18
	v_lshlrev_b32_sdwa v18, v43, v44 dst_sel:DWORD dst_unused:UNUSED_PAD src0_sel:DWORD src1_sel:BYTE_0
	v_fmac_f32_e32 v51, 0x3f5db3d7, v27
	v_fmac_f32_e32 v52, 0xbf5db3d7, v30
	v_add3_u32 v44, v16, v18, v14
	v_add_f32_e32 v16, v28, v40
	v_add_f32_e32 v17, v23, v35
	;; [unrolled: 1-line block ×4, first 2 shown]
	v_fmac_f32_e32 v29, 0xbf5db3d7, v48
	s_barrier
	ds_write2_b64 v44, v[16:17], v[18:19] offset1:6
	v_sub_f32_e32 v17, v23, v35
	v_fmac_f32_e32 v22, 0x3f5db3d7, v38
	v_mul_f32_e32 v23, -0.5, v29
	v_fmac_f32_e32 v23, 0x3f5db3d7, v22
	v_mul_f32_e32 v22, -0.5, v22
	v_fmac_f32_e32 v31, 0xbf5db3d7, v27
	v_fmac_f32_e32 v32, 0x3f5db3d7, v30
	;; [unrolled: 1-line block ×3, first 2 shown]
	v_sub_f32_e32 v16, v28, v40
	v_add_f32_e32 v18, v31, v23
	v_add_f32_e32 v19, v32, v22
	ds_write2_b64 v44, v[18:19], v[16:17] offset0:12 offset1:18
	v_sub_f32_e32 v17, v32, v22
	v_sub_f32_e32 v16, v31, v23
	;; [unrolled: 1-line block ×4, first 2 shown]
	ds_write2_b64 v44, v[18:19], v[16:17] offset0:24 offset1:30
	v_add_f32_e32 v16, v26, v37
	v_add_f32_e32 v22, v21, v26
	v_fmac_f32_e32 v21, -0.5, v16
	v_add_f32_e32 v16, v36, v39
	v_add_f32_e32 v23, v25, v36
	v_fmac_f32_e32 v25, -0.5, v16
	;; [unrolled: 3-line block ×3, first 2 shown]
	v_sub_f32_e32 v32, v36, v39
	v_add_f32_e32 v16, v41, v34
	v_sub_f32_e32 v30, v33, v42
	v_mov_b32_e32 v33, v24
	v_fmac_f32_e32 v24, 0x3f5db3d7, v32
	v_fma_f32 v18, -0.5, v16, v20
	v_sub_f32_e32 v28, v41, v34
	v_mov_b32_e32 v31, v25
	v_fmac_f32_e32 v25, 0xbf5db3d7, v30
	v_mul_f32_e32 v16, -0.5, v24
	v_mov_b32_e32 v29, v21
	v_fmac_f32_e32 v21, 0x3f5db3d7, v28
	v_fmac_f32_e32 v16, 0xbf5db3d7, v25
	v_add_f32_e32 v20, v20, v41
	v_add_f32_e32 v17, v21, v16
	v_sub_f32_e32 v19, v21, v16
	v_mul_f32_e32 v21, -0.5, v25
	v_fmac_f32_e32 v31, 0x3f5db3d7, v30
	v_fmac_f32_e32 v33, 0xbf5db3d7, v32
	;; [unrolled: 1-line block ×3, first 2 shown]
	v_sub_f32_e32 v24, v26, v37
	v_mov_b32_e32 v26, v18
	v_add_f32_e32 v25, v20, v34
	v_add_f32_e32 v34, v22, v37
	;; [unrolled: 1-line block ×4, first 2 shown]
	v_fmac_f32_e32 v29, 0xbf5db3d7, v28
	v_mul_f32_e32 v27, 0x3f5db3d7, v33
	v_mul_f32_e32 v28, 0xbf5db3d7, v31
	v_fmac_f32_e32 v26, 0x3f5db3d7, v24
	v_fmac_f32_e32 v27, 0.5, v31
	v_fmac_f32_e32 v28, 0.5, v33
	v_fmac_f32_e32 v18, 0xbf5db3d7, v24
	v_add_f32_e32 v20, v25, v22
	v_sub_f32_e32 v22, v25, v22
	v_add_f32_e32 v24, v26, v27
	v_add_f32_e32 v25, v29, v28
	v_sub_f32_e32 v26, v26, v27
	v_sub_f32_e32 v27, v29, v28
	v_mad_u32_u24 v28, v46, s0, 0
	v_lshlrev_b32_sdwa v29, v43, v47 dst_sel:DWORD dst_unused:UNUSED_PAD src0_sel:DWORD src1_sel:BYTE_0
	v_add_f32_e32 v16, v18, v21
	v_sub_f32_e32 v18, v18, v21
	v_add_f32_e32 v21, v34, v23
	v_add3_u32 v28, v28, v29, v14
	v_sub_f32_e32 v23, v34, v23
	ds_write2_b64 v28, v[20:21], v[24:25] offset1:6
	ds_write2_b64 v28, v[16:17], v[22:23] offset0:12 offset1:18
	ds_write2_b64 v28, v[26:27], v[18:19] offset0:24 offset1:30
	v_mul_u32_u24_e32 v16, 3, v5
	v_lshlrev_b32_e32 v30, 3, v16
	s_waitcnt lgkmcnt(0)
	s_barrier
	global_load_dwordx4 v[16:19], v30, s[12:13] offset:240
	v_add_u32_e32 v20, -12, v5
	v_cmp_gt_u32_e64 s[0:1], 12, v5
	v_cndmask_b32_e64 v42, v20, v45, s[0:1]
	v_mul_i32_i24_e32 v20, 3, v42
	v_mov_b32_e32 v21, v6
	v_lshlrev_b64 v[20:21], 3, v[20:21]
	v_mov_b32_e32 v22, s13
	v_add_co_u32_e64 v28, s[0:1], s12, v20
	v_addc_co_u32_e64 v29, s[0:1], v22, v21, s[0:1]
	global_load_dwordx4 v[20:23], v[28:29], off offset:240
	global_load_dwordx2 v[36:37], v30, s[12:13] offset:256
	global_load_dwordx4 v[24:27], v30, s[12:13] offset:528
	global_load_dwordx2 v[38:39], v[28:29], off offset:256
	global_load_dwordx2 v[40:41], v30, s[12:13] offset:544
	ds_read2_b64 v[28:31], v12 offset0:72 offset1:96
	ds_read2_b64 v[32:35], v11 offset0:144 offset1:168
	v_cmp_lt_u32_e64 s[0:1], 11, v5
	s_waitcnt vmcnt(5) lgkmcnt(1)
	v_mul_f32_e32 v43, v17, v29
	v_fma_f32 v43, v16, v28, -v43
	v_mul_f32_e32 v28, v17, v28
	v_fmac_f32_e32 v28, v16, v29
	s_waitcnt lgkmcnt(0)
	v_mul_f32_e32 v16, v19, v33
	v_fma_f32 v29, v18, v32, -v16
	v_mul_f32_e32 v32, v19, v32
	v_fmac_f32_e32 v32, v18, v33
	s_waitcnt vmcnt(4)
	v_mul_f32_e32 v16, v21, v31
	v_fma_f32 v33, v20, v30, -v16
	ds_read2_b64 v[16:19], v11 offset0:192 offset1:216
	v_mul_f32_e32 v30, v21, v30
	v_fmac_f32_e32 v30, v20, v31
	v_mul_f32_e32 v20, v23, v35
	v_fma_f32 v31, v22, v34, -v20
	v_mul_f32_e32 v34, v23, v34
	s_waitcnt vmcnt(3) lgkmcnt(0)
	v_mul_f32_e32 v20, v37, v19
	v_fmac_f32_e32 v34, v22, v35
	v_fma_f32 v35, v36, v18, -v20
	ds_read_b64 v[20:21], v12 offset:960
	v_mul_f32_e32 v37, v37, v18
	s_waitcnt vmcnt(2)
	v_mul_f32_e32 v18, v17, v27
	v_mul_f32_e32 v44, v16, v27
	v_fmac_f32_e32 v37, v36, v19
	v_fma_f32 v36, v16, v26, -v18
	v_fmac_f32_e32 v44, v17, v26
	ds_read2_b64 v[16:19], v15 offset0:112 offset1:136
	ds_read_b64 v[22:23], v13
	s_waitcnt lgkmcnt(2)
	v_mul_f32_e32 v26, v21, v25
	v_fma_f32 v45, v20, v24, -v26
	v_mul_f32_e32 v46, v20, v25
	s_waitcnt vmcnt(1) lgkmcnt(1)
	v_mul_f32_e32 v20, v17, v39
	v_fma_f32 v47, v16, v38, -v20
	v_mul_f32_e32 v39, v16, v39
	s_waitcnt vmcnt(0)
	v_mul_f32_e32 v16, v19, v41
	v_fmac_f32_e32 v46, v21, v24
	v_fmac_f32_e32 v39, v17, v38
	v_fma_f32 v38, v18, v40, -v16
	v_mul_f32_e32 v41, v18, v41
	s_waitcnt lgkmcnt(0)
	v_sub_f32_e32 v16, v22, v29
	v_sub_f32_e32 v17, v23, v32
	;; [unrolled: 1-line block ×4, first 2 shown]
	v_fmac_f32_e32 v41, v19, v40
	v_fma_f32 v18, v22, 2.0, -v16
	v_fma_f32 v19, v23, 2.0, -v17
	;; [unrolled: 1-line block ×4, first 2 shown]
	v_sub_f32_e32 v20, v18, v20
	v_sub_f32_e32 v21, v19, v21
	;; [unrolled: 1-line block ×3, first 2 shown]
	v_add_f32_e32 v25, v17, v25
	v_fma_f32 v22, v18, 2.0, -v20
	v_fma_f32 v23, v19, 2.0, -v21
	;; [unrolled: 1-line block ×4, first 2 shown]
	ds_read2_b64 v[16:19], v12 offset0:24 offset1:48
	s_waitcnt lgkmcnt(0)
	s_barrier
	ds_write2_b64 v11, v[22:23], v[26:27] offset1:36
	ds_write2_b64 v11, v[20:21], v[24:25] offset0:72 offset1:108
	v_sub_f32_e32 v22, v16, v31
	v_fma_f32 v20, v16, 2.0, -v22
	v_mov_b32_e32 v16, 0x480
	v_sub_f32_e32 v23, v17, v34
	v_cndmask_b32_e64 v16, 0, v16, s[0:1]
	v_fma_f32 v21, v17, 2.0, -v23
	v_add_u32_e32 v16, 0, v16
	v_lshlrev_b32_e32 v17, 3, v42
	v_sub_f32_e32 v24, v33, v47
	v_sub_f32_e32 v25, v30, v39
	v_add3_u32 v14, v16, v17, v14
	v_fma_f32 v16, v33, 2.0, -v24
	v_fma_f32 v17, v30, 2.0, -v25
	v_sub_f32_e32 v31, v18, v36
	v_sub_f32_e32 v32, v19, v44
	;; [unrolled: 1-line block ×6, first 2 shown]
	v_fma_f32 v26, v18, 2.0, -v31
	v_fma_f32 v27, v19, 2.0, -v32
	;; [unrolled: 1-line block ×4, first 2 shown]
	v_sub_f32_e32 v20, v22, v25
	v_add_f32_e32 v21, v23, v24
	v_fma_f32 v24, v45, 2.0, -v29
	v_fma_f32 v25, v46, 2.0, -v28
	;; [unrolled: 1-line block ×4, first 2 shown]
	v_sub_f32_e32 v24, v26, v24
	v_sub_f32_e32 v25, v27, v25
	;; [unrolled: 1-line block ×3, first 2 shown]
	v_add_f32_e32 v29, v32, v29
	v_fma_f32 v26, v26, 2.0, -v24
	v_fma_f32 v27, v27, 2.0, -v25
	v_fma_f32 v30, v31, 2.0, -v28
	v_fma_f32 v31, v32, 2.0, -v29
	ds_write2_b64 v14, v[18:19], v[22:23] offset1:36
	ds_write2_b64 v14, v[16:17], v[20:21] offset0:72 offset1:108
	ds_write2_b64 v11, v[26:27], v[30:31] offset0:156 offset1:192
	;; [unrolled: 1-line block ×3, first 2 shown]
	v_mov_b32_e32 v14, s13
	v_add_co_u32_e64 v7, s[0:1], s12, v7
	v_addc_co_u32_e64 v8, s[0:1], v14, v8, s[0:1]
	s_waitcnt lgkmcnt(0)
	s_barrier
	global_load_dwordx2 v[20:21], v[7:8], off offset:1104
	v_mov_b32_e32 v8, s13
	v_add_co_u32_e64 v7, s[0:1], s12, v9
	v_addc_co_u32_e64 v8, s[0:1], v8, v10, s[0:1]
	global_load_dwordx2 v[22:23], v[7:8], off offset:1296
	global_load_dwordx2 v[24:25], v[7:8], off offset:1488
	;; [unrolled: 1-line block ×5, first 2 shown]
	ds_read2_b64 v[7:10], v11 offset0:144 offset1:168
	ds_read2_b64 v[16:19], v11 offset0:192 offset1:216
	s_waitcnt vmcnt(5) lgkmcnt(1)
	v_mul_f32_e32 v14, v21, v8
	v_fma_f32 v32, v20, v7, -v14
	v_mul_f32_e32 v33, v21, v7
	s_waitcnt vmcnt(4)
	v_mul_f32_e32 v7, v23, v10
	v_mul_f32_e32 v21, v23, v9
	v_fmac_f32_e32 v33, v20, v8
	v_fma_f32 v20, v22, v9, -v7
	v_fmac_f32_e32 v21, v22, v10
	ds_read2_b64 v[7:10], v15 offset0:112 offset1:136
	s_waitcnt vmcnt(3) lgkmcnt(1)
	v_mul_f32_e32 v14, v25, v17
	v_fma_f32 v22, v24, v16, -v14
	v_mul_f32_e32 v23, v25, v16
	s_waitcnt vmcnt(2)
	v_mul_f32_e32 v14, v27, v19
	v_fmac_f32_e32 v23, v24, v17
	v_fma_f32 v24, v26, v18, -v14
	v_mul_f32_e32 v18, v27, v18
	v_fmac_f32_e32 v18, v26, v19
	s_waitcnt vmcnt(1) lgkmcnt(0)
	v_mul_f32_e32 v19, v29, v8
	v_fma_f32 v19, v28, v7, -v19
	v_mul_f32_e32 v25, v29, v7
	s_waitcnt vmcnt(0)
	v_mul_f32_e32 v7, v10, v31
	v_mul_f32_e32 v27, v9, v31
	v_fmac_f32_e32 v25, v28, v8
	v_fma_f32 v26, v9, v30, -v7
	v_fmac_f32_e32 v27, v10, v30
	ds_read2_b64 v[7:10], v12 offset0:72 offset1:96
	ds_read2_b64 v[14:17], v12 offset0:24 offset1:48
	s_waitcnt lgkmcnt(1)
	v_sub_f32_e32 v34, v8, v18
	v_sub_f32_e32 v35, v9, v19
	ds_read_b64 v[18:19], v13
	s_waitcnt lgkmcnt(1)
	v_sub_f32_e32 v28, v14, v20
	v_sub_f32_e32 v29, v15, v21
	ds_read_b64 v[20:21], v12 offset:960
	v_sub_f32_e32 v30, v16, v22
	v_sub_f32_e32 v31, v17, v23
	s_waitcnt lgkmcnt(1)
	v_sub_f32_e32 v22, v18, v32
	v_sub_f32_e32 v23, v19, v33
	;; [unrolled: 1-line block ×3, first 2 shown]
	v_fma_f32 v18, v18, 2.0, -v22
	v_fma_f32 v19, v19, 2.0, -v23
	;; [unrolled: 1-line block ×3, first 2 shown]
	v_sub_f32_e32 v13, v10, v25
	s_waitcnt lgkmcnt(0)
	v_sub_f32_e32 v25, v20, v26
	v_sub_f32_e32 v26, v21, v27
	s_barrier
	ds_write2_b64 v11, v[18:19], v[22:23] offset1:144
	v_add_u32_e32 v11, 0x400, v12
	v_fma_f32 v14, v14, 2.0, -v28
	v_fma_f32 v15, v15, 2.0, -v29
	;; [unrolled: 1-line block ×9, first 2 shown]
	ds_write2_b32 v11, v28, v29 offset0:80 offset1:81
	ds_write2_b64 v12, v[14:15], v[16:17] offset0:24 offset1:48
	ds_write2_b32 v11, v30, v31 offset0:128 offset1:129
	ds_write2_b32 v11, v24, v34 offset0:176 offset1:177
	ds_write2_b64 v12, v[7:8], v[9:10] offset0:72 offset1:96
	ds_write2_b32 v11, v35, v13 offset0:224 offset1:225
	ds_write_b64 v12, v[20:21] offset:960
	v_add_u32_e32 v7, 0x800, v12
	ds_write2_b32 v7, v25, v26 offset0:16 offset1:17
	s_waitcnt lgkmcnt(0)
	s_barrier
	s_and_saveexec_b64 s[0:1], vcc
	s_cbranch_execz .LBB0_20
; %bb.19:
	v_mul_lo_u32 v7, s3, v3
	v_mul_lo_u32 v8, s2, v4
	v_mad_u64_u32 v[3:4], s[0:1], s2, v3, 0
	v_lshl_add_u32 v11, v5, 3, v0
	v_mov_b32_e32 v0, s11
	v_add3_u32 v4, v4, v8, v7
	v_lshlrev_b64 v[3:4], 3, v[3:4]
	ds_read2_b64 v[7:10], v11 offset1:24
	v_add_co_u32_e32 v3, vcc, s10, v3
	v_addc_co_u32_e32 v4, vcc, v0, v4, vcc
	v_lshlrev_b64 v[0:1], 3, v[1:2]
	v_add_co_u32_e32 v12, vcc, v3, v0
	v_addc_co_u32_e32 v4, vcc, v4, v1, vcc
	v_lshlrev_b64 v[0:1], 3, v[5:6]
	v_add_co_u32_e32 v0, vcc, v12, v0
	v_addc_co_u32_e32 v1, vcc, v4, v1, vcc
	s_waitcnt lgkmcnt(0)
	global_store_dwordx2 v[0:1], v[7:8], off
	v_add_u32_e32 v0, 24, v5
	v_mov_b32_e32 v1, v6
	v_lshlrev_b64 v[0:1], 3, v[0:1]
	v_add_u32_e32 v7, 48, v5
	v_add_co_u32_e32 v0, vcc, v12, v0
	v_addc_co_u32_e32 v1, vcc, v4, v1, vcc
	global_store_dwordx2 v[0:1], v[9:10], off
	v_mov_b32_e32 v8, v6
	ds_read2_b64 v[0:3], v11 offset0:48 offset1:72
	v_lshlrev_b64 v[7:8], 3, v[7:8]
	v_add_co_u32_e32 v7, vcc, v12, v7
	v_addc_co_u32_e32 v8, vcc, v4, v8, vcc
	s_waitcnt lgkmcnt(0)
	global_store_dwordx2 v[7:8], v[0:1], off
	v_add_u32_e32 v0, 0x48, v5
	v_mov_b32_e32 v1, v6
	v_lshlrev_b64 v[0:1], 3, v[0:1]
	v_add_u32_e32 v7, 0x60, v5
	v_add_co_u32_e32 v0, vcc, v12, v0
	v_addc_co_u32_e32 v1, vcc, v4, v1, vcc
	global_store_dwordx2 v[0:1], v[2:3], off
	v_mov_b32_e32 v8, v6
	ds_read2_b64 v[0:3], v11 offset0:96 offset1:120
	;; [unrolled: 14-line block ×4, first 2 shown]
	v_lshlrev_b64 v[7:8], 3, v[7:8]
	v_add_co_u32_e32 v7, vcc, v12, v7
	v_addc_co_u32_e32 v8, vcc, v4, v8, vcc
	s_waitcnt lgkmcnt(0)
	global_store_dwordx2 v[7:8], v[0:1], off
	v_add_u32_e32 v0, 0xd8, v5
	v_mov_b32_e32 v1, v6
	v_lshlrev_b64 v[0:1], 3, v[0:1]
	v_add_u32_e32 v7, 0xf0, v5
	v_add_co_u32_e32 v0, vcc, v12, v0
	v_addc_co_u32_e32 v1, vcc, v4, v1, vcc
	global_store_dwordx2 v[0:1], v[2:3], off
	v_add_u32_e32 v0, 0x400, v11
	v_mov_b32_e32 v8, v6
	ds_read2_b64 v[0:3], v0 offset0:112 offset1:136
	v_lshlrev_b64 v[7:8], 3, v[7:8]
	v_add_u32_e32 v5, 0x108, v5
	v_add_co_u32_e32 v7, vcc, v12, v7
	v_addc_co_u32_e32 v8, vcc, v4, v8, vcc
	s_waitcnt lgkmcnt(0)
	global_store_dwordx2 v[7:8], v[0:1], off
	v_lshlrev_b64 v[0:1], 3, v[5:6]
	v_add_co_u32_e32 v0, vcc, v12, v0
	v_addc_co_u32_e32 v1, vcc, v4, v1, vcc
	global_store_dwordx2 v[0:1], v[2:3], off
.LBB0_20:
	s_endpgm
	.section	.rodata,"a",@progbits
	.p2align	6, 0x0
	.amdhsa_kernel fft_rtc_fwd_len288_factors_6_6_4_2_wgs_120_tpt_24_halfLds_sp_op_CI_CI_unitstride_sbrr_C2R_dirReg
		.amdhsa_group_segment_fixed_size 0
		.amdhsa_private_segment_fixed_size 0
		.amdhsa_kernarg_size 104
		.amdhsa_user_sgpr_count 6
		.amdhsa_user_sgpr_private_segment_buffer 1
		.amdhsa_user_sgpr_dispatch_ptr 0
		.amdhsa_user_sgpr_queue_ptr 0
		.amdhsa_user_sgpr_kernarg_segment_ptr 1
		.amdhsa_user_sgpr_dispatch_id 0
		.amdhsa_user_sgpr_flat_scratch_init 0
		.amdhsa_user_sgpr_private_segment_size 0
		.amdhsa_uses_dynamic_stack 0
		.amdhsa_system_sgpr_private_segment_wavefront_offset 0
		.amdhsa_system_sgpr_workgroup_id_x 1
		.amdhsa_system_sgpr_workgroup_id_y 0
		.amdhsa_system_sgpr_workgroup_id_z 0
		.amdhsa_system_sgpr_workgroup_info 0
		.amdhsa_system_vgpr_workitem_id 0
		.amdhsa_next_free_vgpr 53
		.amdhsa_next_free_sgpr 28
		.amdhsa_reserve_vcc 1
		.amdhsa_reserve_flat_scratch 0
		.amdhsa_float_round_mode_32 0
		.amdhsa_float_round_mode_16_64 0
		.amdhsa_float_denorm_mode_32 3
		.amdhsa_float_denorm_mode_16_64 3
		.amdhsa_dx10_clamp 1
		.amdhsa_ieee_mode 1
		.amdhsa_fp16_overflow 0
		.amdhsa_exception_fp_ieee_invalid_op 0
		.amdhsa_exception_fp_denorm_src 0
		.amdhsa_exception_fp_ieee_div_zero 0
		.amdhsa_exception_fp_ieee_overflow 0
		.amdhsa_exception_fp_ieee_underflow 0
		.amdhsa_exception_fp_ieee_inexact 0
		.amdhsa_exception_int_div_zero 0
	.end_amdhsa_kernel
	.text
.Lfunc_end0:
	.size	fft_rtc_fwd_len288_factors_6_6_4_2_wgs_120_tpt_24_halfLds_sp_op_CI_CI_unitstride_sbrr_C2R_dirReg, .Lfunc_end0-fft_rtc_fwd_len288_factors_6_6_4_2_wgs_120_tpt_24_halfLds_sp_op_CI_CI_unitstride_sbrr_C2R_dirReg
                                        ; -- End function
	.section	.AMDGPU.csdata,"",@progbits
; Kernel info:
; codeLenInByte = 6184
; NumSgprs: 32
; NumVgprs: 53
; ScratchSize: 0
; MemoryBound: 0
; FloatMode: 240
; IeeeMode: 1
; LDSByteSize: 0 bytes/workgroup (compile time only)
; SGPRBlocks: 3
; VGPRBlocks: 13
; NumSGPRsForWavesPerEU: 32
; NumVGPRsForWavesPerEU: 53
; Occupancy: 4
; WaveLimiterHint : 1
; COMPUTE_PGM_RSRC2:SCRATCH_EN: 0
; COMPUTE_PGM_RSRC2:USER_SGPR: 6
; COMPUTE_PGM_RSRC2:TRAP_HANDLER: 0
; COMPUTE_PGM_RSRC2:TGID_X_EN: 1
; COMPUTE_PGM_RSRC2:TGID_Y_EN: 0
; COMPUTE_PGM_RSRC2:TGID_Z_EN: 0
; COMPUTE_PGM_RSRC2:TIDIG_COMP_CNT: 0
	.type	__hip_cuid_3b9bec02e4233ae2,@object ; @__hip_cuid_3b9bec02e4233ae2
	.section	.bss,"aw",@nobits
	.globl	__hip_cuid_3b9bec02e4233ae2
__hip_cuid_3b9bec02e4233ae2:
	.byte	0                               ; 0x0
	.size	__hip_cuid_3b9bec02e4233ae2, 1

	.ident	"AMD clang version 19.0.0git (https://github.com/RadeonOpenCompute/llvm-project roc-6.4.0 25133 c7fe45cf4b819c5991fe208aaa96edf142730f1d)"
	.section	".note.GNU-stack","",@progbits
	.addrsig
	.addrsig_sym __hip_cuid_3b9bec02e4233ae2
	.amdgpu_metadata
---
amdhsa.kernels:
  - .args:
      - .actual_access:  read_only
        .address_space:  global
        .offset:         0
        .size:           8
        .value_kind:     global_buffer
      - .offset:         8
        .size:           8
        .value_kind:     by_value
      - .actual_access:  read_only
        .address_space:  global
        .offset:         16
        .size:           8
        .value_kind:     global_buffer
      - .actual_access:  read_only
        .address_space:  global
        .offset:         24
        .size:           8
        .value_kind:     global_buffer
      - .actual_access:  read_only
        .address_space:  global
        .offset:         32
        .size:           8
        .value_kind:     global_buffer
      - .offset:         40
        .size:           8
        .value_kind:     by_value
      - .actual_access:  read_only
        .address_space:  global
        .offset:         48
        .size:           8
        .value_kind:     global_buffer
      - .actual_access:  read_only
        .address_space:  global
        .offset:         56
        .size:           8
        .value_kind:     global_buffer
      - .offset:         64
        .size:           4
        .value_kind:     by_value
      - .actual_access:  read_only
        .address_space:  global
        .offset:         72
        .size:           8
        .value_kind:     global_buffer
      - .actual_access:  read_only
        .address_space:  global
        .offset:         80
        .size:           8
        .value_kind:     global_buffer
      - .actual_access:  read_only
        .address_space:  global
        .offset:         88
        .size:           8
        .value_kind:     global_buffer
      - .actual_access:  write_only
        .address_space:  global
        .offset:         96
        .size:           8
        .value_kind:     global_buffer
    .group_segment_fixed_size: 0
    .kernarg_segment_align: 8
    .kernarg_segment_size: 104
    .language:       OpenCL C
    .language_version:
      - 2
      - 0
    .max_flat_workgroup_size: 120
    .name:           fft_rtc_fwd_len288_factors_6_6_4_2_wgs_120_tpt_24_halfLds_sp_op_CI_CI_unitstride_sbrr_C2R_dirReg
    .private_segment_fixed_size: 0
    .sgpr_count:     32
    .sgpr_spill_count: 0
    .symbol:         fft_rtc_fwd_len288_factors_6_6_4_2_wgs_120_tpt_24_halfLds_sp_op_CI_CI_unitstride_sbrr_C2R_dirReg.kd
    .uniform_work_group_size: 1
    .uses_dynamic_stack: false
    .vgpr_count:     53
    .vgpr_spill_count: 0
    .wavefront_size: 64
amdhsa.target:   amdgcn-amd-amdhsa--gfx906
amdhsa.version:
  - 1
  - 2
...

	.end_amdgpu_metadata
